;; amdgpu-corpus repo=zjin-lcf/HeCBench kind=compiled arch=gfx906 opt=O3
	.amdgcn_target "amdgcn-amd-amdhsa--gfx906"
	.amdhsa_code_object_version 6
	.text
	.protected	_Z4corePdS_PKdS1_iidddd ; -- Begin function _Z4corePdS_PKdS1_iidddd
	.globl	_Z4corePdS_PKdS1_iidddd
	.p2align	8
	.type	_Z4corePdS_PKdS1_iidddd,@function
_Z4corePdS_PKdS1_iidddd:                ; @_Z4corePdS_PKdS1_iidddd
; %bb.0:
	s_load_dword s0, s[4:5], 0x54
	s_load_dwordx2 s[2:3], s[4:5], 0x20
	s_waitcnt lgkmcnt(0)
	s_lshr_b32 s1, s0, 16
	s_and_b32 s0, s0, 0xffff
	s_mul_i32 s6, s6, s0
	s_mul_i32 s7, s7, s1
	v_add_u32_e32 v13, s6, v0
	v_add_u32_e32 v11, s7, v1
	;; [unrolled: 1-line block ×3, first 2 shown]
	s_add_i32 s0, s2, -1
	v_add_u32_e32 v12, 1, v11
	v_cmp_gt_i32_e32 vcc, s0, v2
	s_add_i32 s0, s3, -1
	v_cmp_gt_i32_e64 s[0:1], s0, v12
	s_and_b64 s[0:1], vcc, s[0:1]
	s_and_saveexec_b64 s[6:7], s[0:1]
	s_cbranch_execz .LBB0_2
; %bb.1:
	s_load_dwordx8 s[8:15], s[4:5], 0x28
	s_load_dwordx8 s[16:23], s[4:5], 0x0
	s_waitcnt lgkmcnt(0)
	v_mov_b32_e32 v0, s10
	v_mov_b32_e32 v1, s11
	v_mul_f64 v[5:6], s[12:13], s[12:13]
	v_mul_f64 v[3:4], s[8:9], v[0:1]
	;; [unrolled: 1-line block ×3, first 2 shown]
	v_div_scale_f64 v[7:8], s[0:1], v[5:6], v[5:6], v[3:4]
	v_div_scale_f64 v[16:17], s[0:1], v[9:10], v[9:10], v[3:4]
	v_div_scale_f64 v[22:23], vcc, v[3:4], v[5:6], v[3:4]
	v_rcp_f64_e32 v[14:15], v[7:8]
	v_rcp_f64_e32 v[20:21], v[16:17]
	v_fma_f64 v[18:19], -v[7:8], v[14:15], 1.0
	v_fma_f64 v[24:25], -v[16:17], v[20:21], 1.0
	v_fma_f64 v[14:15], v[14:15], v[18:19], v[14:15]
	v_fma_f64 v[20:21], v[20:21], v[24:25], v[20:21]
	v_fma_f64 v[18:19], -v[7:8], v[14:15], 1.0
	v_fma_f64 v[14:15], v[14:15], v[18:19], v[14:15]
	v_div_scale_f64 v[18:19], s[0:1], s[12:13], s[12:13], v[0:1]
	v_mul_f64 v[24:25], v[22:23], v[14:15]
	v_fma_f64 v[7:8], -v[7:8], v[24:25], v[22:23]
	v_rcp_f64_e32 v[22:23], v[18:19]
	v_div_fmas_f64 v[14:15], v[7:8], v[14:15], v[24:25]
	v_fma_f64 v[7:8], -v[16:17], v[20:21], 1.0
	v_div_scale_f64 v[24:25], vcc, v[3:4], v[9:10], v[3:4]
	v_fma_f64 v[26:27], -v[18:19], v[22:23], 1.0
	v_fma_f64 v[7:8], v[20:21], v[7:8], v[20:21]
	v_div_fixup_f64 v[5:6], v[14:15], v[5:6], v[3:4]
	v_fma_f64 v[22:23], v[22:23], v[26:27], v[22:23]
	v_fma_f64 v[20:21], -v[18:19], v[22:23], 1.0
	v_fma_f64 v[20:21], v[22:23], v[20:21], v[22:23]
	v_mul_f64 v[22:23], v[24:25], v[7:8]
	v_fma_f64 v[16:17], -v[16:17], v[22:23], v[24:25]
	v_mov_b32_e32 v25, s13
	v_mov_b32_e32 v24, s12
	v_div_scale_f64 v[24:25], s[0:1], s[10:11], v[24:25], s[10:11]
	v_div_fmas_f64 v[16:17], v[16:17], v[7:8], v[22:23]
	v_div_scale_f64 v[22:23], s[6:7], s[14:15], s[14:15], v[0:1]
	s_mov_b64 vcc, s[0:1]
	v_mul_f64 v[7:8], v[24:25], v[20:21]
	v_div_fixup_f64 v[3:4], v[16:17], v[9:10], v[3:4]
	v_fma_f64 v[18:19], -v[18:19], v[7:8], v[24:25]
	v_rcp_f64_e32 v[24:25], v[22:23]
	v_div_fmas_f64 v[7:8], v[18:19], v[20:21], v[7:8]
	v_mov_b32_e32 v19, s15
	v_mov_b32_e32 v18, s14
	v_div_scale_f64 v[18:19], vcc, s[10:11], v[18:19], s[10:11]
	v_fma_f64 v[26:27], -v[22:23], v[24:25], 1.0
	v_div_fixup_f64 v[7:8], v[7:8], s[12:13], v[0:1]
	v_fma_f64 v[24:25], v[24:25], v[26:27], v[24:25]
	v_mul_lo_u32 v26, v12, s2
	v_add_u32_e32 v12, v26, v13
	v_ashrrev_i32_e32 v13, 31, v12
	v_fma_f64 v[20:21], -v[22:23], v[24:25], 1.0
	v_fma_f64 v[20:21], v[24:25], v[20:21], v[24:25]
	v_mul_f64 v[24:25], v[18:19], v[20:21]
	v_fma_f64 v[18:19], -v[22:23], v[24:25], v[18:19]
	v_mov_b32_e32 v23, s21
	v_add_u32_e32 v22, v26, v2
	v_mov_b32_e32 v26, s23
	v_add_u32_e32 v9, s2, v22
	v_ashrrev_i32_e32 v10, 31, v9
	v_lshlrev_b64 v[9:10], 3, v[9:10]
	v_div_fmas_f64 v[18:19], v[18:19], v[20:21], v[24:25]
	v_add_u32_e32 v20, 2, v12
	v_lshlrev_b64 v[12:13], 3, v[12:13]
	v_ashrrev_i32_e32 v21, 31, v20
	v_add_co_u32_e32 v16, vcc, s20, v12
	v_addc_co_u32_e32 v17, vcc, v23, v13, vcc
	v_mov_b32_e32 v24, s23
	v_lshlrev_b64 v[14:15], 3, v[20:21]
	v_add_co_u32_e32 v12, vcc, s22, v12
	v_addc_co_u32_e32 v13, vcc, v24, v13, vcc
	v_mov_b32_e32 v25, s21
	v_add_co_u32_e32 v20, vcc, s20, v14
	v_addc_co_u32_e32 v21, vcc, v25, v15, vcc
	v_add_co_u32_e32 v14, vcc, s22, v14
	v_addc_co_u32_e32 v15, vcc, v26, v15, vcc
	v_mad_u64_u32 v[26:27], s[0:1], v11, s2, v[2:3]
	v_add_co_u32_e32 v24, vcc, s20, v9
	v_addc_co_u32_e32 v25, vcc, v23, v10, vcc
	v_ashrrev_i32_e32 v27, 31, v26
	v_mov_b32_e32 v23, s23
	v_add_co_u32_e32 v9, vcc, s22, v9
	v_lshlrev_b64 v[26:27], 3, v[26:27]
	v_addc_co_u32_e32 v10, vcc, v23, v10, vcc
	v_mov_b32_e32 v2, s21
	v_add_co_u32_e32 v28, vcc, s20, v26
	v_addc_co_u32_e32 v29, vcc, v2, v27, vcc
	v_ashrrev_i32_e32 v23, 31, v22
	v_mov_b32_e32 v2, s23
	v_add_co_u32_e32 v26, vcc, s22, v26
	v_lshlrev_b64 v[22:23], 3, v[22:23]
	v_addc_co_u32_e32 v27, vcc, v2, v27, vcc
	v_mov_b32_e32 v2, s21
	v_add_co_u32_e32 v30, vcc, s20, v22
	v_addc_co_u32_e32 v31, vcc, v2, v23, vcc
	global_load_dwordx2 v[20:21], v[20:21], off
	s_nop 0
	global_load_dwordx2 v[16:17], v[16:17], off
	s_nop 0
	;; [unrolled: 2-line block ×4, first 2 shown]
	global_load_dwordx2 v[28:29], v[28:29], off
	v_mov_b32_e32 v2, s23
	v_div_fixup_f64 v[0:1], v[18:19], s[14:15], v[0:1]
	s_waitcnt vmcnt(3)
	v_add_f64 v[20:21], v[20:21], v[16:17]
	s_waitcnt vmcnt(1)
	v_mul_f64 v[7:8], v[7:8], v[30:31]
	s_waitcnt vmcnt(0)
	v_add_f64 v[24:25], v[24:25], v[28:29]
	v_fma_f64 v[20:21], v[30:31], -2.0, v[20:21]
	v_fma_f64 v[24:25], v[30:31], -2.0, v[24:25]
	v_fma_f64 v[20:21], v[5:6], v[20:21], v[30:31]
	v_fma_f64 v[20:21], v[3:4], v[24:25], v[20:21]
	v_add_co_u32_e32 v24, vcc, s22, v22
	v_addc_co_u32_e32 v25, vcc, v2, v23, vcc
	global_load_dwordx2 v[14:15], v[14:15], off
	s_nop 0
	global_load_dwordx2 v[11:12], v[12:13], off
	s_nop 0
	global_load_dwordx2 v[9:10], v[9:10], off
	s_nop 0
	global_load_dwordx2 v[24:25], v[24:25], off
	s_waitcnt vmcnt(2)
	v_add_f64 v[13:14], v[14:15], v[11:12]
	v_add_f64 v[15:16], v[30:31], -v[16:17]
	s_waitcnt vmcnt(0)
	v_mul_f64 v[0:1], v[0:1], v[24:25]
	v_fma_f64 v[13:14], v[24:25], -2.0, v[13:14]
	v_fma_f64 v[5:6], v[5:6], v[13:14], v[24:25]
	global_load_dwordx2 v[13:14], v[26:27], off
	s_waitcnt vmcnt(0)
	v_add_f64 v[9:10], v[9:10], v[13:14]
	v_fma_f64 v[9:10], v[24:25], -2.0, v[9:10]
	v_fma_f64 v[2:3], v[3:4], v[9:10], v[5:6]
	v_add_f64 v[4:5], v[24:25], -v[11:12]
	v_fma_f64 v[9:10], -v[7:8], v[15:16], v[20:21]
	v_add_f64 v[11:12], v[30:31], -v[28:29]
	v_fma_f64 v[2:3], -v[7:8], v[4:5], v[2:3]
	;; [unrolled: 2-line block ×3, first 2 shown]
	v_mov_b32_e32 v8, s17
	v_fma_f64 v[0:1], -v[0:1], v[4:5], v[2:3]
	v_add_co_u32_e32 v2, vcc, s16, v22
	v_addc_co_u32_e32 v3, vcc, v8, v23, vcc
	global_store_dwordx2 v[2:3], v[6:7], off
	v_mov_b32_e32 v3, s19
	v_add_co_u32_e32 v2, vcc, s18, v22
	v_addc_co_u32_e32 v3, vcc, v3, v23, vcc
	global_store_dwordx2 v[2:3], v[0:1], off
.LBB0_2:
	s_endpgm
	.section	.rodata,"a",@progbits
	.p2align	6, 0x0
	.amdhsa_kernel _Z4corePdS_PKdS1_iidddd
		.amdhsa_group_segment_fixed_size 0
		.amdhsa_private_segment_fixed_size 0
		.amdhsa_kernarg_size 328
		.amdhsa_user_sgpr_count 6
		.amdhsa_user_sgpr_private_segment_buffer 1
		.amdhsa_user_sgpr_dispatch_ptr 0
		.amdhsa_user_sgpr_queue_ptr 0
		.amdhsa_user_sgpr_kernarg_segment_ptr 1
		.amdhsa_user_sgpr_dispatch_id 0
		.amdhsa_user_sgpr_flat_scratch_init 0
		.amdhsa_user_sgpr_private_segment_size 0
		.amdhsa_uses_dynamic_stack 0
		.amdhsa_system_sgpr_private_segment_wavefront_offset 0
		.amdhsa_system_sgpr_workgroup_id_x 1
		.amdhsa_system_sgpr_workgroup_id_y 1
		.amdhsa_system_sgpr_workgroup_id_z 0
		.amdhsa_system_sgpr_workgroup_info 0
		.amdhsa_system_vgpr_workitem_id 1
		.amdhsa_next_free_vgpr 32
		.amdhsa_next_free_sgpr 24
		.amdhsa_reserve_vcc 1
		.amdhsa_reserve_flat_scratch 0
		.amdhsa_float_round_mode_32 0
		.amdhsa_float_round_mode_16_64 0
		.amdhsa_float_denorm_mode_32 3
		.amdhsa_float_denorm_mode_16_64 3
		.amdhsa_dx10_clamp 1
		.amdhsa_ieee_mode 1
		.amdhsa_fp16_overflow 0
		.amdhsa_exception_fp_ieee_invalid_op 0
		.amdhsa_exception_fp_denorm_src 0
		.amdhsa_exception_fp_ieee_div_zero 0
		.amdhsa_exception_fp_ieee_overflow 0
		.amdhsa_exception_fp_ieee_underflow 0
		.amdhsa_exception_fp_ieee_inexact 0
		.amdhsa_exception_int_div_zero 0
	.end_amdhsa_kernel
	.text
.Lfunc_end0:
	.size	_Z4corePdS_PKdS1_iidddd, .Lfunc_end0-_Z4corePdS_PKdS1_iidddd
                                        ; -- End function
	.set _Z4corePdS_PKdS1_iidddd.num_vgpr, 32
	.set _Z4corePdS_PKdS1_iidddd.num_agpr, 0
	.set _Z4corePdS_PKdS1_iidddd.numbered_sgpr, 24
	.set _Z4corePdS_PKdS1_iidddd.num_named_barrier, 0
	.set _Z4corePdS_PKdS1_iidddd.private_seg_size, 0
	.set _Z4corePdS_PKdS1_iidddd.uses_vcc, 1
	.set _Z4corePdS_PKdS1_iidddd.uses_flat_scratch, 0
	.set _Z4corePdS_PKdS1_iidddd.has_dyn_sized_stack, 0
	.set _Z4corePdS_PKdS1_iidddd.has_recursion, 0
	.set _Z4corePdS_PKdS1_iidddd.has_indirect_call, 0
	.section	.AMDGPU.csdata,"",@progbits
; Kernel info:
; codeLenInByte = 1056
; TotalNumSgprs: 28
; NumVgprs: 32
; ScratchSize: 0
; MemoryBound: 0
; FloatMode: 240
; IeeeMode: 1
; LDSByteSize: 0 bytes/workgroup (compile time only)
; SGPRBlocks: 3
; VGPRBlocks: 7
; NumSGPRsForWavesPerEU: 28
; NumVGPRsForWavesPerEU: 32
; Occupancy: 8
; WaveLimiterHint : 0
; COMPUTE_PGM_RSRC2:SCRATCH_EN: 0
; COMPUTE_PGM_RSRC2:USER_SGPR: 6
; COMPUTE_PGM_RSRC2:TRAP_HANDLER: 0
; COMPUTE_PGM_RSRC2:TGID_X_EN: 1
; COMPUTE_PGM_RSRC2:TGID_Y_EN: 1
; COMPUTE_PGM_RSRC2:TGID_Z_EN: 0
; COMPUTE_PGM_RSRC2:TIDIG_COMP_CNT: 1
	.text
	.protected	_Z7bound_hPdS_ii        ; -- Begin function _Z7bound_hPdS_ii
	.globl	_Z7bound_hPdS_ii
	.p2align	8
	.type	_Z7bound_hPdS_ii,@function
_Z7bound_hPdS_ii:                       ; @_Z7bound_hPdS_ii
; %bb.0:
	s_load_dword s2, s[4:5], 0x24
	s_load_dwordx2 s[0:1], s[4:5], 0x10
	s_waitcnt lgkmcnt(0)
	s_and_b32 s2, s2, 0xffff
	s_mul_i32 s6, s6, s2
	v_add_u32_e32 v0, s6, v0
	v_cmp_gt_i32_e32 vcc, s0, v0
	s_and_saveexec_b64 s[2:3], vcc
	s_cbranch_execz .LBB1_2
; %bb.1:
	s_load_dwordx4 s[4:7], s[4:5], 0x0
	v_ashrrev_i32_e32 v1, 31, v0
	v_lshlrev_b64 v[0:1], 3, v[0:1]
	s_add_i32 s1, s1, -1
	s_mov_b64 s[2:3], 1.0
	s_waitcnt lgkmcnt(0)
	v_mov_b32_e32 v3, s5
	v_add_co_u32_e32 v2, vcc, s4, v0
	v_addc_co_u32_e32 v3, vcc, v3, v1, vcc
	s_mul_i32 s0, s1, s0
	v_mov_b32_e32 v5, s3
	v_mov_b32_e32 v6, s7
	v_add_co_u32_e32 v0, vcc, s6, v0
	s_ashr_i32 s1, s0, 31
	v_mov_b32_e32 v4, s2
	v_addc_co_u32_e32 v1, vcc, v6, v1, vcc
	s_lshl_b64 s[0:1], s[0:1], 3
	global_store_dwordx2 v[2:3], v[4:5], off
	v_mov_b32_e32 v6, s1
	v_add_co_u32_e32 v2, vcc, s0, v2
	v_addc_co_u32_e32 v3, vcc, v3, v6, vcc
	global_store_dwordx2 v[0:1], v[4:5], off
	v_add_co_u32_e32 v0, vcc, s0, v0
	v_addc_co_u32_e32 v1, vcc, v1, v6, vcc
	global_store_dwordx2 v[2:3], v[4:5], off
	global_store_dwordx2 v[0:1], v[4:5], off
.LBB1_2:
	s_endpgm
	.section	.rodata,"a",@progbits
	.p2align	6, 0x0
	.amdhsa_kernel _Z7bound_hPdS_ii
		.amdhsa_group_segment_fixed_size 0
		.amdhsa_private_segment_fixed_size 0
		.amdhsa_kernarg_size 280
		.amdhsa_user_sgpr_count 6
		.amdhsa_user_sgpr_private_segment_buffer 1
		.amdhsa_user_sgpr_dispatch_ptr 0
		.amdhsa_user_sgpr_queue_ptr 0
		.amdhsa_user_sgpr_kernarg_segment_ptr 1
		.amdhsa_user_sgpr_dispatch_id 0
		.amdhsa_user_sgpr_flat_scratch_init 0
		.amdhsa_user_sgpr_private_segment_size 0
		.amdhsa_uses_dynamic_stack 0
		.amdhsa_system_sgpr_private_segment_wavefront_offset 0
		.amdhsa_system_sgpr_workgroup_id_x 1
		.amdhsa_system_sgpr_workgroup_id_y 0
		.amdhsa_system_sgpr_workgroup_id_z 0
		.amdhsa_system_sgpr_workgroup_info 0
		.amdhsa_system_vgpr_workitem_id 0
		.amdhsa_next_free_vgpr 7
		.amdhsa_next_free_sgpr 8
		.amdhsa_reserve_vcc 1
		.amdhsa_reserve_flat_scratch 0
		.amdhsa_float_round_mode_32 0
		.amdhsa_float_round_mode_16_64 0
		.amdhsa_float_denorm_mode_32 3
		.amdhsa_float_denorm_mode_16_64 3
		.amdhsa_dx10_clamp 1
		.amdhsa_ieee_mode 1
		.amdhsa_fp16_overflow 0
		.amdhsa_exception_fp_ieee_invalid_op 0
		.amdhsa_exception_fp_denorm_src 0
		.amdhsa_exception_fp_ieee_div_zero 0
		.amdhsa_exception_fp_ieee_overflow 0
		.amdhsa_exception_fp_ieee_underflow 0
		.amdhsa_exception_fp_ieee_inexact 0
		.amdhsa_exception_int_div_zero 0
	.end_amdhsa_kernel
	.text
.Lfunc_end1:
	.size	_Z7bound_hPdS_ii, .Lfunc_end1-_Z7bound_hPdS_ii
                                        ; -- End function
	.set _Z7bound_hPdS_ii.num_vgpr, 7
	.set _Z7bound_hPdS_ii.num_agpr, 0
	.set _Z7bound_hPdS_ii.numbered_sgpr, 8
	.set _Z7bound_hPdS_ii.num_named_barrier, 0
	.set _Z7bound_hPdS_ii.private_seg_size, 0
	.set _Z7bound_hPdS_ii.uses_vcc, 1
	.set _Z7bound_hPdS_ii.uses_flat_scratch, 0
	.set _Z7bound_hPdS_ii.has_dyn_sized_stack, 0
	.set _Z7bound_hPdS_ii.has_recursion, 0
	.set _Z7bound_hPdS_ii.has_indirect_call, 0
	.section	.AMDGPU.csdata,"",@progbits
; Kernel info:
; codeLenInByte = 180
; TotalNumSgprs: 12
; NumVgprs: 7
; ScratchSize: 0
; MemoryBound: 0
; FloatMode: 240
; IeeeMode: 1
; LDSByteSize: 0 bytes/workgroup (compile time only)
; SGPRBlocks: 1
; VGPRBlocks: 1
; NumSGPRsForWavesPerEU: 12
; NumVGPRsForWavesPerEU: 7
; Occupancy: 10
; WaveLimiterHint : 0
; COMPUTE_PGM_RSRC2:SCRATCH_EN: 0
; COMPUTE_PGM_RSRC2:USER_SGPR: 6
; COMPUTE_PGM_RSRC2:TRAP_HANDLER: 0
; COMPUTE_PGM_RSRC2:TGID_X_EN: 1
; COMPUTE_PGM_RSRC2:TGID_Y_EN: 0
; COMPUTE_PGM_RSRC2:TGID_Z_EN: 0
; COMPUTE_PGM_RSRC2:TIDIG_COMP_CNT: 0
	.text
	.protected	_Z7bound_vPdS_ii        ; -- Begin function _Z7bound_vPdS_ii
	.globl	_Z7bound_vPdS_ii
	.p2align	8
	.type	_Z7bound_vPdS_ii,@function
_Z7bound_vPdS_ii:                       ; @_Z7bound_vPdS_ii
; %bb.0:
	s_load_dword s2, s[4:5], 0x24
	s_load_dwordx2 s[0:1], s[4:5], 0x10
	s_waitcnt lgkmcnt(0)
	s_and_b32 s2, s2, 0xffff
	s_mul_i32 s6, s6, s2
	v_add_u32_e32 v0, s6, v0
	v_cmp_gt_i32_e32 vcc, s1, v0
	s_and_saveexec_b64 s[2:3], vcc
	s_cbranch_execz .LBB2_2
; %bb.1:
	v_mul_lo_u32 v0, v0, s0
	s_load_dwordx4 s[4:7], s[4:5], 0x0
	s_mov_b64 s[2:3], 1.0
	v_mov_b32_e32 v5, s3
	v_ashrrev_i32_e32 v1, 31, v0
	v_lshlrev_b64 v[0:1], 3, v[0:1]
	s_waitcnt lgkmcnt(0)
	v_mov_b32_e32 v3, s5
	v_add_co_u32_e32 v2, vcc, s4, v0
	v_addc_co_u32_e32 v3, vcc, v3, v1, vcc
	v_mov_b32_e32 v6, s7
	v_add_co_u32_e32 v0, vcc, s6, v0
	s_ashr_i32 s1, s0, 31
	v_mov_b32_e32 v4, s2
	v_addc_co_u32_e32 v1, vcc, v6, v1, vcc
	s_lshl_b64 s[0:1], s[0:1], 3
	global_store_dwordx2 v[2:3], v[4:5], off
	v_mov_b32_e32 v6, s1
	v_add_co_u32_e32 v2, vcc, s0, v2
	v_addc_co_u32_e32 v3, vcc, v3, v6, vcc
	global_store_dwordx2 v[0:1], v[4:5], off
	v_add_co_u32_e32 v0, vcc, s0, v0
	v_addc_co_u32_e32 v1, vcc, v1, v6, vcc
	global_store_dwordx2 v[2:3], v[4:5], off offset:-8
	global_store_dwordx2 v[0:1], v[4:5], off offset:-8
.LBB2_2:
	s_endpgm
	.section	.rodata,"a",@progbits
	.p2align	6, 0x0
	.amdhsa_kernel _Z7bound_vPdS_ii
		.amdhsa_group_segment_fixed_size 0
		.amdhsa_private_segment_fixed_size 0
		.amdhsa_kernarg_size 280
		.amdhsa_user_sgpr_count 6
		.amdhsa_user_sgpr_private_segment_buffer 1
		.amdhsa_user_sgpr_dispatch_ptr 0
		.amdhsa_user_sgpr_queue_ptr 0
		.amdhsa_user_sgpr_kernarg_segment_ptr 1
		.amdhsa_user_sgpr_dispatch_id 0
		.amdhsa_user_sgpr_flat_scratch_init 0
		.amdhsa_user_sgpr_private_segment_size 0
		.amdhsa_uses_dynamic_stack 0
		.amdhsa_system_sgpr_private_segment_wavefront_offset 0
		.amdhsa_system_sgpr_workgroup_id_x 1
		.amdhsa_system_sgpr_workgroup_id_y 0
		.amdhsa_system_sgpr_workgroup_id_z 0
		.amdhsa_system_sgpr_workgroup_info 0
		.amdhsa_system_vgpr_workitem_id 0
		.amdhsa_next_free_vgpr 7
		.amdhsa_next_free_sgpr 8
		.amdhsa_reserve_vcc 1
		.amdhsa_reserve_flat_scratch 0
		.amdhsa_float_round_mode_32 0
		.amdhsa_float_round_mode_16_64 0
		.amdhsa_float_denorm_mode_32 3
		.amdhsa_float_denorm_mode_16_64 3
		.amdhsa_dx10_clamp 1
		.amdhsa_ieee_mode 1
		.amdhsa_fp16_overflow 0
		.amdhsa_exception_fp_ieee_invalid_op 0
		.amdhsa_exception_fp_denorm_src 0
		.amdhsa_exception_fp_ieee_div_zero 0
		.amdhsa_exception_fp_ieee_overflow 0
		.amdhsa_exception_fp_ieee_underflow 0
		.amdhsa_exception_fp_ieee_inexact 0
		.amdhsa_exception_int_div_zero 0
	.end_amdhsa_kernel
	.text
.Lfunc_end2:
	.size	_Z7bound_vPdS_ii, .Lfunc_end2-_Z7bound_vPdS_ii
                                        ; -- End function
	.set _Z7bound_vPdS_ii.num_vgpr, 7
	.set _Z7bound_vPdS_ii.num_agpr, 0
	.set _Z7bound_vPdS_ii.numbered_sgpr, 8
	.set _Z7bound_vPdS_ii.num_named_barrier, 0
	.set _Z7bound_vPdS_ii.private_seg_size, 0
	.set _Z7bound_vPdS_ii.uses_vcc, 1
	.set _Z7bound_vPdS_ii.uses_flat_scratch, 0
	.set _Z7bound_vPdS_ii.has_dyn_sized_stack, 0
	.set _Z7bound_vPdS_ii.has_recursion, 0
	.set _Z7bound_vPdS_ii.has_indirect_call, 0
	.section	.AMDGPU.csdata,"",@progbits
; Kernel info:
; codeLenInByte = 180
; TotalNumSgprs: 12
; NumVgprs: 7
; ScratchSize: 0
; MemoryBound: 0
; FloatMode: 240
; IeeeMode: 1
; LDSByteSize: 0 bytes/workgroup (compile time only)
; SGPRBlocks: 1
; VGPRBlocks: 1
; NumSGPRsForWavesPerEU: 12
; NumVGPRsForWavesPerEU: 7
; Occupancy: 10
; WaveLimiterHint : 0
; COMPUTE_PGM_RSRC2:SCRATCH_EN: 0
; COMPUTE_PGM_RSRC2:USER_SGPR: 6
; COMPUTE_PGM_RSRC2:TRAP_HANDLER: 0
; COMPUTE_PGM_RSRC2:TGID_X_EN: 1
; COMPUTE_PGM_RSRC2:TGID_Y_EN: 0
; COMPUTE_PGM_RSRC2:TGID_Z_EN: 0
; COMPUTE_PGM_RSRC2:TIDIG_COMP_CNT: 0
	.text
	.protected	_Z6updatePdS_PKdS1_i    ; -- Begin function _Z6updatePdS_PKdS1_i
	.globl	_Z6updatePdS_PKdS1_i
	.p2align	8
	.type	_Z6updatePdS_PKdS1_i,@function
_Z6updatePdS_PKdS1_i:                   ; @_Z6updatePdS_PKdS1_i
; %bb.0:
	s_load_dword s0, s[4:5], 0x34
	s_load_dword s1, s[4:5], 0x20
	s_waitcnt lgkmcnt(0)
	s_and_b32 s0, s0, 0xffff
	s_mul_i32 s6, s6, s0
	v_add_u32_e32 v0, s6, v0
	v_cmp_gt_i32_e32 vcc, s1, v0
	s_and_saveexec_b64 s[0:1], vcc
	s_cbranch_execz .LBB3_2
; %bb.1:
	s_load_dwordx8 s[8:15], s[4:5], 0x0
	v_ashrrev_i32_e32 v1, 31, v0
	v_lshlrev_b64 v[0:1], 3, v[0:1]
	s_waitcnt lgkmcnt(0)
	v_mov_b32_e32 v3, s15
	v_add_co_u32_e32 v2, vcc, s14, v0
	v_addc_co_u32_e32 v3, vcc, v3, v1, vcc
	v_mov_b32_e32 v5, s13
	v_add_co_u32_e32 v4, vcc, s12, v0
	v_addc_co_u32_e32 v5, vcc, v5, v1, vcc
	global_load_dwordx2 v[6:7], v[4:5], off
	global_load_dwordx2 v[8:9], v[2:3], off
	v_mov_b32_e32 v3, s11
	v_add_co_u32_e32 v2, vcc, s10, v0
	v_addc_co_u32_e32 v3, vcc, v3, v1, vcc
	v_mov_b32_e32 v4, s9
	v_add_co_u32_e32 v0, vcc, s8, v0
	v_addc_co_u32_e32 v1, vcc, v4, v1, vcc
	s_waitcnt vmcnt(1)
	global_store_dwordx2 v[0:1], v[6:7], off
	s_waitcnt vmcnt(1)
	global_store_dwordx2 v[2:3], v[8:9], off
.LBB3_2:
	s_endpgm
	.section	.rodata,"a",@progbits
	.p2align	6, 0x0
	.amdhsa_kernel _Z6updatePdS_PKdS1_i
		.amdhsa_group_segment_fixed_size 0
		.amdhsa_private_segment_fixed_size 0
		.amdhsa_kernarg_size 296
		.amdhsa_user_sgpr_count 6
		.amdhsa_user_sgpr_private_segment_buffer 1
		.amdhsa_user_sgpr_dispatch_ptr 0
		.amdhsa_user_sgpr_queue_ptr 0
		.amdhsa_user_sgpr_kernarg_segment_ptr 1
		.amdhsa_user_sgpr_dispatch_id 0
		.amdhsa_user_sgpr_flat_scratch_init 0
		.amdhsa_user_sgpr_private_segment_size 0
		.amdhsa_uses_dynamic_stack 0
		.amdhsa_system_sgpr_private_segment_wavefront_offset 0
		.amdhsa_system_sgpr_workgroup_id_x 1
		.amdhsa_system_sgpr_workgroup_id_y 0
		.amdhsa_system_sgpr_workgroup_id_z 0
		.amdhsa_system_sgpr_workgroup_info 0
		.amdhsa_system_vgpr_workitem_id 0
		.amdhsa_next_free_vgpr 10
		.amdhsa_next_free_sgpr 16
		.amdhsa_reserve_vcc 1
		.amdhsa_reserve_flat_scratch 0
		.amdhsa_float_round_mode_32 0
		.amdhsa_float_round_mode_16_64 0
		.amdhsa_float_denorm_mode_32 3
		.amdhsa_float_denorm_mode_16_64 3
		.amdhsa_dx10_clamp 1
		.amdhsa_ieee_mode 1
		.amdhsa_fp16_overflow 0
		.amdhsa_exception_fp_ieee_invalid_op 0
		.amdhsa_exception_fp_denorm_src 0
		.amdhsa_exception_fp_ieee_div_zero 0
		.amdhsa_exception_fp_ieee_overflow 0
		.amdhsa_exception_fp_ieee_underflow 0
		.amdhsa_exception_fp_ieee_inexact 0
		.amdhsa_exception_int_div_zero 0
	.end_amdhsa_kernel
	.text
.Lfunc_end3:
	.size	_Z6updatePdS_PKdS1_i, .Lfunc_end3-_Z6updatePdS_PKdS1_i
                                        ; -- End function
	.set _Z6updatePdS_PKdS1_i.num_vgpr, 10
	.set _Z6updatePdS_PKdS1_i.num_agpr, 0
	.set _Z6updatePdS_PKdS1_i.numbered_sgpr, 16
	.set _Z6updatePdS_PKdS1_i.num_named_barrier, 0
	.set _Z6updatePdS_PKdS1_i.private_seg_size, 0
	.set _Z6updatePdS_PKdS1_i.uses_vcc, 1
	.set _Z6updatePdS_PKdS1_i.uses_flat_scratch, 0
	.set _Z6updatePdS_PKdS1_i.has_dyn_sized_stack, 0
	.set _Z6updatePdS_PKdS1_i.has_recursion, 0
	.set _Z6updatePdS_PKdS1_i.has_indirect_call, 0
	.section	.AMDGPU.csdata,"",@progbits
; Kernel info:
; codeLenInByte = 164
; TotalNumSgprs: 20
; NumVgprs: 10
; ScratchSize: 0
; MemoryBound: 0
; FloatMode: 240
; IeeeMode: 1
; LDSByteSize: 0 bytes/workgroup (compile time only)
; SGPRBlocks: 2
; VGPRBlocks: 2
; NumSGPRsForWavesPerEU: 20
; NumVGPRsForWavesPerEU: 10
; Occupancy: 10
; WaveLimiterHint : 0
; COMPUTE_PGM_RSRC2:SCRATCH_EN: 0
; COMPUTE_PGM_RSRC2:USER_SGPR: 6
; COMPUTE_PGM_RSRC2:TRAP_HANDLER: 0
; COMPUTE_PGM_RSRC2:TGID_X_EN: 1
; COMPUTE_PGM_RSRC2:TGID_Y_EN: 0
; COMPUTE_PGM_RSRC2:TGID_Z_EN: 0
; COMPUTE_PGM_RSRC2:TIDIG_COMP_CNT: 0
	.section	.AMDGPU.gpr_maximums,"",@progbits
	.set amdgpu.max_num_vgpr, 0
	.set amdgpu.max_num_agpr, 0
	.set amdgpu.max_num_sgpr, 0
	.section	.AMDGPU.csdata,"",@progbits
	.type	__hip_cuid_1fd0fdeb365342ce,@object ; @__hip_cuid_1fd0fdeb365342ce
	.section	.bss,"aw",@nobits
	.globl	__hip_cuid_1fd0fdeb365342ce
__hip_cuid_1fd0fdeb365342ce:
	.byte	0                               ; 0x0
	.size	__hip_cuid_1fd0fdeb365342ce, 1

	.ident	"AMD clang version 22.0.0git (https://github.com/RadeonOpenCompute/llvm-project roc-7.2.4 26084 f58b06dce1f9c15707c5f808fd002e18c2accf7e)"
	.section	".note.GNU-stack","",@progbits
	.addrsig
	.addrsig_sym __hip_cuid_1fd0fdeb365342ce
	.amdgpu_metadata
---
amdhsa.kernels:
  - .args:
      - .actual_access:  write_only
        .address_space:  global
        .offset:         0
        .size:           8
        .value_kind:     global_buffer
      - .actual_access:  write_only
        .address_space:  global
        .offset:         8
        .size:           8
        .value_kind:     global_buffer
      - .actual_access:  read_only
        .address_space:  global
        .offset:         16
        .size:           8
        .value_kind:     global_buffer
      - .actual_access:  read_only
        .address_space:  global
        .offset:         24
        .size:           8
        .value_kind:     global_buffer
      - .offset:         32
        .size:           4
        .value_kind:     by_value
      - .offset:         36
        .size:           4
        .value_kind:     by_value
      - .offset:         40
        .size:           8
        .value_kind:     by_value
      - .offset:         48
        .size:           8
        .value_kind:     by_value
      - .offset:         56
        .size:           8
        .value_kind:     by_value
      - .offset:         64
        .size:           8
        .value_kind:     by_value
      - .offset:         72
        .size:           4
        .value_kind:     hidden_block_count_x
      - .offset:         76
        .size:           4
        .value_kind:     hidden_block_count_y
      - .offset:         80
        .size:           4
        .value_kind:     hidden_block_count_z
      - .offset:         84
        .size:           2
        .value_kind:     hidden_group_size_x
      - .offset:         86
        .size:           2
        .value_kind:     hidden_group_size_y
      - .offset:         88
        .size:           2
        .value_kind:     hidden_group_size_z
      - .offset:         90
        .size:           2
        .value_kind:     hidden_remainder_x
      - .offset:         92
        .size:           2
        .value_kind:     hidden_remainder_y
      - .offset:         94
        .size:           2
        .value_kind:     hidden_remainder_z
      - .offset:         112
        .size:           8
        .value_kind:     hidden_global_offset_x
      - .offset:         120
        .size:           8
        .value_kind:     hidden_global_offset_y
      - .offset:         128
        .size:           8
        .value_kind:     hidden_global_offset_z
      - .offset:         136
        .size:           2
        .value_kind:     hidden_grid_dims
    .group_segment_fixed_size: 0
    .kernarg_segment_align: 8
    .kernarg_segment_size: 328
    .language:       OpenCL C
    .language_version:
      - 2
      - 0
    .max_flat_workgroup_size: 1024
    .name:           _Z4corePdS_PKdS1_iidddd
    .private_segment_fixed_size: 0
    .sgpr_count:     28
    .sgpr_spill_count: 0
    .symbol:         _Z4corePdS_PKdS1_iidddd.kd
    .uniform_work_group_size: 1
    .uses_dynamic_stack: false
    .vgpr_count:     32
    .vgpr_spill_count: 0
    .wavefront_size: 64
  - .args:
      - .actual_access:  write_only
        .address_space:  global
        .offset:         0
        .size:           8
        .value_kind:     global_buffer
      - .actual_access:  write_only
        .address_space:  global
        .offset:         8
        .size:           8
        .value_kind:     global_buffer
      - .offset:         16
        .size:           4
        .value_kind:     by_value
      - .offset:         20
        .size:           4
        .value_kind:     by_value
      - .offset:         24
        .size:           4
        .value_kind:     hidden_block_count_x
      - .offset:         28
        .size:           4
        .value_kind:     hidden_block_count_y
      - .offset:         32
        .size:           4
        .value_kind:     hidden_block_count_z
      - .offset:         36
        .size:           2
        .value_kind:     hidden_group_size_x
      - .offset:         38
        .size:           2
        .value_kind:     hidden_group_size_y
      - .offset:         40
        .size:           2
        .value_kind:     hidden_group_size_z
      - .offset:         42
        .size:           2
        .value_kind:     hidden_remainder_x
      - .offset:         44
        .size:           2
        .value_kind:     hidden_remainder_y
      - .offset:         46
        .size:           2
        .value_kind:     hidden_remainder_z
      - .offset:         64
        .size:           8
        .value_kind:     hidden_global_offset_x
      - .offset:         72
        .size:           8
        .value_kind:     hidden_global_offset_y
      - .offset:         80
        .size:           8
        .value_kind:     hidden_global_offset_z
      - .offset:         88
        .size:           2
        .value_kind:     hidden_grid_dims
    .group_segment_fixed_size: 0
    .kernarg_segment_align: 8
    .kernarg_segment_size: 280
    .language:       OpenCL C
    .language_version:
      - 2
      - 0
    .max_flat_workgroup_size: 1024
    .name:           _Z7bound_hPdS_ii
    .private_segment_fixed_size: 0
    .sgpr_count:     12
    .sgpr_spill_count: 0
    .symbol:         _Z7bound_hPdS_ii.kd
    .uniform_work_group_size: 1
    .uses_dynamic_stack: false
    .vgpr_count:     7
    .vgpr_spill_count: 0
    .wavefront_size: 64
  - .args:
      - .actual_access:  write_only
        .address_space:  global
        .offset:         0
        .size:           8
        .value_kind:     global_buffer
      - .actual_access:  write_only
        .address_space:  global
        .offset:         8
        .size:           8
        .value_kind:     global_buffer
      - .offset:         16
        .size:           4
        .value_kind:     by_value
      - .offset:         20
        .size:           4
        .value_kind:     by_value
      - .offset:         24
        .size:           4
        .value_kind:     hidden_block_count_x
      - .offset:         28
        .size:           4
        .value_kind:     hidden_block_count_y
      - .offset:         32
        .size:           4
        .value_kind:     hidden_block_count_z
      - .offset:         36
        .size:           2
        .value_kind:     hidden_group_size_x
      - .offset:         38
        .size:           2
        .value_kind:     hidden_group_size_y
      - .offset:         40
        .size:           2
        .value_kind:     hidden_group_size_z
      - .offset:         42
        .size:           2
        .value_kind:     hidden_remainder_x
      - .offset:         44
        .size:           2
        .value_kind:     hidden_remainder_y
      - .offset:         46
        .size:           2
        .value_kind:     hidden_remainder_z
      - .offset:         64
        .size:           8
        .value_kind:     hidden_global_offset_x
      - .offset:         72
        .size:           8
        .value_kind:     hidden_global_offset_y
      - .offset:         80
        .size:           8
        .value_kind:     hidden_global_offset_z
      - .offset:         88
        .size:           2
        .value_kind:     hidden_grid_dims
    .group_segment_fixed_size: 0
    .kernarg_segment_align: 8
    .kernarg_segment_size: 280
    .language:       OpenCL C
    .language_version:
      - 2
      - 0
    .max_flat_workgroup_size: 1024
    .name:           _Z7bound_vPdS_ii
    .private_segment_fixed_size: 0
    .sgpr_count:     12
    .sgpr_spill_count: 0
    .symbol:         _Z7bound_vPdS_ii.kd
    .uniform_work_group_size: 1
    .uses_dynamic_stack: false
    .vgpr_count:     7
    .vgpr_spill_count: 0
    .wavefront_size: 64
  - .args:
      - .actual_access:  write_only
        .address_space:  global
        .offset:         0
        .size:           8
        .value_kind:     global_buffer
      - .actual_access:  write_only
        .address_space:  global
        .offset:         8
        .size:           8
        .value_kind:     global_buffer
      - .actual_access:  read_only
        .address_space:  global
        .offset:         16
        .size:           8
        .value_kind:     global_buffer
      - .actual_access:  read_only
        .address_space:  global
        .offset:         24
        .size:           8
        .value_kind:     global_buffer
      - .offset:         32
        .size:           4
        .value_kind:     by_value
      - .offset:         40
        .size:           4
        .value_kind:     hidden_block_count_x
      - .offset:         44
        .size:           4
        .value_kind:     hidden_block_count_y
      - .offset:         48
        .size:           4
        .value_kind:     hidden_block_count_z
      - .offset:         52
        .size:           2
        .value_kind:     hidden_group_size_x
      - .offset:         54
        .size:           2
        .value_kind:     hidden_group_size_y
      - .offset:         56
        .size:           2
        .value_kind:     hidden_group_size_z
      - .offset:         58
        .size:           2
        .value_kind:     hidden_remainder_x
      - .offset:         60
        .size:           2
        .value_kind:     hidden_remainder_y
      - .offset:         62
        .size:           2
        .value_kind:     hidden_remainder_z
      - .offset:         80
        .size:           8
        .value_kind:     hidden_global_offset_x
      - .offset:         88
        .size:           8
        .value_kind:     hidden_global_offset_y
      - .offset:         96
        .size:           8
        .value_kind:     hidden_global_offset_z
      - .offset:         104
        .size:           2
        .value_kind:     hidden_grid_dims
    .group_segment_fixed_size: 0
    .kernarg_segment_align: 8
    .kernarg_segment_size: 296
    .language:       OpenCL C
    .language_version:
      - 2
      - 0
    .max_flat_workgroup_size: 1024
    .name:           _Z6updatePdS_PKdS1_i
    .private_segment_fixed_size: 0
    .sgpr_count:     20
    .sgpr_spill_count: 0
    .symbol:         _Z6updatePdS_PKdS1_i.kd
    .uniform_work_group_size: 1
    .uses_dynamic_stack: false
    .vgpr_count:     10
    .vgpr_spill_count: 0
    .wavefront_size: 64
amdhsa.target:   amdgcn-amd-amdhsa--gfx906
amdhsa.version:
  - 1
  - 2
...

	.end_amdgpu_metadata
